;; amdgpu-corpus repo=ROCm/rocFFT kind=compiled arch=gfx1201 opt=O3
	.text
	.amdgcn_target "amdgcn-amd-amdhsa--gfx1201"
	.amdhsa_code_object_version 6
	.protected	fft_rtc_fwd_len360_factors_10_6_6_wgs_240_tpt_60_halfLds_dp_op_CI_CI_unitstride_sbrr_R2C_dirReg ; -- Begin function fft_rtc_fwd_len360_factors_10_6_6_wgs_240_tpt_60_halfLds_dp_op_CI_CI_unitstride_sbrr_R2C_dirReg
	.globl	fft_rtc_fwd_len360_factors_10_6_6_wgs_240_tpt_60_halfLds_dp_op_CI_CI_unitstride_sbrr_R2C_dirReg
	.p2align	8
	.type	fft_rtc_fwd_len360_factors_10_6_6_wgs_240_tpt_60_halfLds_dp_op_CI_CI_unitstride_sbrr_R2C_dirReg,@function
fft_rtc_fwd_len360_factors_10_6_6_wgs_240_tpt_60_halfLds_dp_op_CI_CI_unitstride_sbrr_R2C_dirReg: ; @fft_rtc_fwd_len360_factors_10_6_6_wgs_240_tpt_60_halfLds_dp_op_CI_CI_unitstride_sbrr_R2C_dirReg
; %bb.0:
	s_clause 0x2
	s_load_b128 s[8:11], s[0:1], 0x0
	s_load_b128 s[4:7], s[0:1], 0x58
	;; [unrolled: 1-line block ×3, first 2 shown]
	v_mul_u32_u24_e32 v1, 0x445, v0
	v_mov_b32_e32 v3, 0
	s_delay_alu instid0(VALU_DEP_2) | instskip(SKIP_2) | instid1(VALU_DEP_4)
	v_lshrrev_b32_e32 v7, 16, v1
	v_mov_b32_e32 v1, 0
	v_mov_b32_e32 v2, 0
	;; [unrolled: 1-line block ×3, first 2 shown]
	s_delay_alu instid0(VALU_DEP_4) | instskip(SKIP_2) | instid1(VALU_DEP_1)
	v_lshl_add_u32 v5, ttmp9, 2, v7
	s_wait_kmcnt 0x0
	v_cmp_lt_u64_e64 s2, s[10:11], 2
	s_and_b32 vcc_lo, exec_lo, s2
	s_cbranch_vccnz .LBB0_8
; %bb.1:
	s_load_b64 s[2:3], s[0:1], 0x10
	v_mov_b32_e32 v1, 0
	v_mov_b32_e32 v2, 0
	s_add_nc_u64 s[16:17], s[14:15], 8
	s_add_nc_u64 s[18:19], s[12:13], 8
	s_mov_b64 s[20:21], 1
	s_delay_alu instid0(VALU_DEP_1)
	v_dual_mov_b32 v41, v2 :: v_dual_mov_b32 v40, v1
	s_wait_kmcnt 0x0
	s_add_nc_u64 s[22:23], s[2:3], 8
	s_mov_b32 s3, 0
.LBB0_2:                                ; =>This Inner Loop Header: Depth=1
	s_load_b64 s[24:25], s[22:23], 0x0
                                        ; implicit-def: $vgpr42_vgpr43
	s_mov_b32 s2, exec_lo
	s_wait_kmcnt 0x0
	v_or_b32_e32 v4, s25, v6
	s_delay_alu instid0(VALU_DEP_1)
	v_cmpx_ne_u64_e32 0, v[3:4]
	s_wait_alu 0xfffe
	s_xor_b32 s26, exec_lo, s2
	s_cbranch_execz .LBB0_4
; %bb.3:                                ;   in Loop: Header=BB0_2 Depth=1
	s_cvt_f32_u32 s2, s24
	s_cvt_f32_u32 s27, s25
	s_sub_nc_u64 s[30:31], 0, s[24:25]
	s_wait_alu 0xfffe
	s_delay_alu instid0(SALU_CYCLE_1) | instskip(SKIP_1) | instid1(SALU_CYCLE_2)
	s_fmamk_f32 s2, s27, 0x4f800000, s2
	s_wait_alu 0xfffe
	v_s_rcp_f32 s2, s2
	s_delay_alu instid0(TRANS32_DEP_1) | instskip(SKIP_1) | instid1(SALU_CYCLE_2)
	s_mul_f32 s2, s2, 0x5f7ffffc
	s_wait_alu 0xfffe
	s_mul_f32 s27, s2, 0x2f800000
	s_wait_alu 0xfffe
	s_delay_alu instid0(SALU_CYCLE_2) | instskip(SKIP_1) | instid1(SALU_CYCLE_2)
	s_trunc_f32 s27, s27
	s_wait_alu 0xfffe
	s_fmamk_f32 s2, s27, 0xcf800000, s2
	s_cvt_u32_f32 s29, s27
	s_wait_alu 0xfffe
	s_delay_alu instid0(SALU_CYCLE_1) | instskip(SKIP_1) | instid1(SALU_CYCLE_2)
	s_cvt_u32_f32 s28, s2
	s_wait_alu 0xfffe
	s_mul_u64 s[34:35], s[30:31], s[28:29]
	s_wait_alu 0xfffe
	s_mul_hi_u32 s37, s28, s35
	s_mul_i32 s36, s28, s35
	s_mul_hi_u32 s2, s28, s34
	s_mul_i32 s33, s29, s34
	s_wait_alu 0xfffe
	s_add_nc_u64 s[36:37], s[2:3], s[36:37]
	s_mul_hi_u32 s27, s29, s34
	s_mul_hi_u32 s38, s29, s35
	s_add_co_u32 s2, s36, s33
	s_wait_alu 0xfffe
	s_add_co_ci_u32 s2, s37, s27
	s_mul_i32 s34, s29, s35
	s_add_co_ci_u32 s35, s38, 0
	s_wait_alu 0xfffe
	s_add_nc_u64 s[34:35], s[2:3], s[34:35]
	s_wait_alu 0xfffe
	v_add_co_u32 v4, s2, s28, s34
	s_delay_alu instid0(VALU_DEP_1) | instskip(SKIP_1) | instid1(VALU_DEP_1)
	s_cmp_lg_u32 s2, 0
	s_add_co_ci_u32 s29, s29, s35
	v_readfirstlane_b32 s28, v4
	s_wait_alu 0xfffe
	s_delay_alu instid0(VALU_DEP_1)
	s_mul_u64 s[30:31], s[30:31], s[28:29]
	s_wait_alu 0xfffe
	s_mul_hi_u32 s35, s28, s31
	s_mul_i32 s34, s28, s31
	s_mul_hi_u32 s2, s28, s30
	s_mul_i32 s33, s29, s30
	s_wait_alu 0xfffe
	s_add_nc_u64 s[34:35], s[2:3], s[34:35]
	s_mul_hi_u32 s27, s29, s30
	s_mul_hi_u32 s28, s29, s31
	s_wait_alu 0xfffe
	s_add_co_u32 s2, s34, s33
	s_add_co_ci_u32 s2, s35, s27
	s_mul_i32 s30, s29, s31
	s_add_co_ci_u32 s31, s28, 0
	s_wait_alu 0xfffe
	s_add_nc_u64 s[30:31], s[2:3], s[30:31]
	s_wait_alu 0xfffe
	v_add_co_u32 v4, s2, v4, s30
	s_delay_alu instid0(VALU_DEP_1) | instskip(SKIP_1) | instid1(VALU_DEP_1)
	s_cmp_lg_u32 s2, 0
	s_add_co_ci_u32 s2, s29, s31
	v_mul_hi_u32 v14, v5, v4
	s_wait_alu 0xfffe
	v_mad_co_u64_u32 v[8:9], null, v5, s2, 0
	v_mad_co_u64_u32 v[10:11], null, v6, v4, 0
	;; [unrolled: 1-line block ×3, first 2 shown]
	s_delay_alu instid0(VALU_DEP_3) | instskip(SKIP_1) | instid1(VALU_DEP_4)
	v_add_co_u32 v4, vcc_lo, v14, v8
	s_wait_alu 0xfffd
	v_add_co_ci_u32_e32 v8, vcc_lo, 0, v9, vcc_lo
	s_delay_alu instid0(VALU_DEP_2) | instskip(SKIP_1) | instid1(VALU_DEP_2)
	v_add_co_u32 v4, vcc_lo, v4, v10
	s_wait_alu 0xfffd
	v_add_co_ci_u32_e32 v4, vcc_lo, v8, v11, vcc_lo
	s_wait_alu 0xfffd
	v_add_co_ci_u32_e32 v8, vcc_lo, 0, v13, vcc_lo
	s_delay_alu instid0(VALU_DEP_2) | instskip(SKIP_1) | instid1(VALU_DEP_2)
	v_add_co_u32 v4, vcc_lo, v4, v12
	s_wait_alu 0xfffd
	v_add_co_ci_u32_e32 v10, vcc_lo, 0, v8, vcc_lo
	s_delay_alu instid0(VALU_DEP_2) | instskip(SKIP_1) | instid1(VALU_DEP_3)
	v_mul_lo_u32 v11, s25, v4
	v_mad_co_u64_u32 v[8:9], null, s24, v4, 0
	v_mul_lo_u32 v12, s24, v10
	s_delay_alu instid0(VALU_DEP_2) | instskip(NEXT) | instid1(VALU_DEP_2)
	v_sub_co_u32 v8, vcc_lo, v5, v8
	v_add3_u32 v9, v9, v12, v11
	s_delay_alu instid0(VALU_DEP_1) | instskip(SKIP_1) | instid1(VALU_DEP_1)
	v_sub_nc_u32_e32 v11, v6, v9
	s_wait_alu 0xfffd
	v_subrev_co_ci_u32_e64 v11, s2, s25, v11, vcc_lo
	v_add_co_u32 v12, s2, v4, 2
	s_wait_alu 0xf1ff
	v_add_co_ci_u32_e64 v13, s2, 0, v10, s2
	v_sub_co_u32 v14, s2, v8, s24
	v_sub_co_ci_u32_e32 v9, vcc_lo, v6, v9, vcc_lo
	s_wait_alu 0xf1ff
	v_subrev_co_ci_u32_e64 v11, s2, 0, v11, s2
	s_delay_alu instid0(VALU_DEP_3) | instskip(NEXT) | instid1(VALU_DEP_3)
	v_cmp_le_u32_e32 vcc_lo, s24, v14
	v_cmp_eq_u32_e64 s2, s25, v9
	s_wait_alu 0xfffd
	v_cndmask_b32_e64 v14, 0, -1, vcc_lo
	v_cmp_le_u32_e32 vcc_lo, s25, v11
	s_wait_alu 0xfffd
	v_cndmask_b32_e64 v15, 0, -1, vcc_lo
	v_cmp_le_u32_e32 vcc_lo, s24, v8
	;; [unrolled: 3-line block ×3, first 2 shown]
	s_wait_alu 0xfffd
	v_cndmask_b32_e64 v16, 0, -1, vcc_lo
	v_cmp_eq_u32_e32 vcc_lo, s25, v11
	s_wait_alu 0xf1ff
	s_delay_alu instid0(VALU_DEP_2)
	v_cndmask_b32_e64 v8, v16, v8, s2
	s_wait_alu 0xfffd
	v_cndmask_b32_e32 v11, v15, v14, vcc_lo
	v_add_co_u32 v14, vcc_lo, v4, 1
	s_wait_alu 0xfffd
	v_add_co_ci_u32_e32 v15, vcc_lo, 0, v10, vcc_lo
	s_delay_alu instid0(VALU_DEP_3) | instskip(SKIP_2) | instid1(VALU_DEP_3)
	v_cmp_ne_u32_e32 vcc_lo, 0, v11
	s_wait_alu 0xfffd
	v_cndmask_b32_e32 v11, v14, v12, vcc_lo
	v_cndmask_b32_e32 v9, v15, v13, vcc_lo
	v_cmp_ne_u32_e32 vcc_lo, 0, v8
	s_wait_alu 0xfffd
	s_delay_alu instid0(VALU_DEP_2)
	v_dual_cndmask_b32 v42, v4, v11 :: v_dual_cndmask_b32 v43, v10, v9
.LBB0_4:                                ;   in Loop: Header=BB0_2 Depth=1
	s_wait_alu 0xfffe
	s_and_not1_saveexec_b32 s2, s26
	s_cbranch_execz .LBB0_6
; %bb.5:                                ;   in Loop: Header=BB0_2 Depth=1
	v_cvt_f32_u32_e32 v4, s24
	s_sub_co_i32 s26, 0, s24
	v_mov_b32_e32 v43, v3
	s_delay_alu instid0(VALU_DEP_2) | instskip(NEXT) | instid1(TRANS32_DEP_1)
	v_rcp_iflag_f32_e32 v4, v4
	v_mul_f32_e32 v4, 0x4f7ffffe, v4
	s_delay_alu instid0(VALU_DEP_1) | instskip(SKIP_1) | instid1(VALU_DEP_1)
	v_cvt_u32_f32_e32 v4, v4
	s_wait_alu 0xfffe
	v_mul_lo_u32 v8, s26, v4
	s_delay_alu instid0(VALU_DEP_1) | instskip(NEXT) | instid1(VALU_DEP_1)
	v_mul_hi_u32 v8, v4, v8
	v_add_nc_u32_e32 v4, v4, v8
	s_delay_alu instid0(VALU_DEP_1) | instskip(NEXT) | instid1(VALU_DEP_1)
	v_mul_hi_u32 v4, v5, v4
	v_mul_lo_u32 v8, v4, s24
	s_delay_alu instid0(VALU_DEP_1) | instskip(NEXT) | instid1(VALU_DEP_1)
	v_sub_nc_u32_e32 v8, v5, v8
	v_subrev_nc_u32_e32 v10, s24, v8
	v_cmp_le_u32_e32 vcc_lo, s24, v8
	s_wait_alu 0xfffd
	s_delay_alu instid0(VALU_DEP_2) | instskip(NEXT) | instid1(VALU_DEP_1)
	v_dual_cndmask_b32 v8, v8, v10 :: v_dual_add_nc_u32 v9, 1, v4
	v_cndmask_b32_e32 v4, v4, v9, vcc_lo
	s_delay_alu instid0(VALU_DEP_2) | instskip(NEXT) | instid1(VALU_DEP_2)
	v_cmp_le_u32_e32 vcc_lo, s24, v8
	v_add_nc_u32_e32 v9, 1, v4
	s_wait_alu 0xfffd
	s_delay_alu instid0(VALU_DEP_1)
	v_cndmask_b32_e32 v42, v4, v9, vcc_lo
.LBB0_6:                                ;   in Loop: Header=BB0_2 Depth=1
	s_wait_alu 0xfffe
	s_or_b32 exec_lo, exec_lo, s2
	v_mul_lo_u32 v4, v43, s24
	s_delay_alu instid0(VALU_DEP_2)
	v_mul_lo_u32 v10, v42, s25
	s_load_b64 s[26:27], s[18:19], 0x0
	v_mad_co_u64_u32 v[8:9], null, v42, s24, 0
	s_load_b64 s[24:25], s[16:17], 0x0
	s_add_nc_u64 s[20:21], s[20:21], 1
	s_add_nc_u64 s[16:17], s[16:17], 8
	s_wait_alu 0xfffe
	v_cmp_ge_u64_e64 s2, s[20:21], s[10:11]
	s_add_nc_u64 s[18:19], s[18:19], 8
	s_add_nc_u64 s[22:23], s[22:23], 8
	v_add3_u32 v4, v9, v10, v4
	v_sub_co_u32 v5, vcc_lo, v5, v8
	s_wait_alu 0xfffd
	s_delay_alu instid0(VALU_DEP_2) | instskip(SKIP_2) | instid1(VALU_DEP_1)
	v_sub_co_ci_u32_e32 v4, vcc_lo, v6, v4, vcc_lo
	s_and_b32 vcc_lo, exec_lo, s2
	s_wait_kmcnt 0x0
	v_mul_lo_u32 v6, s26, v4
	v_mul_lo_u32 v8, s27, v5
	v_mad_co_u64_u32 v[1:2], null, s26, v5, v[1:2]
	v_mul_lo_u32 v4, s24, v4
	v_mul_lo_u32 v9, s25, v5
	v_mad_co_u64_u32 v[40:41], null, s24, v5, v[40:41]
	s_delay_alu instid0(VALU_DEP_4) | instskip(NEXT) | instid1(VALU_DEP_2)
	v_add3_u32 v2, v8, v2, v6
	v_add3_u32 v41, v9, v41, v4
	s_wait_alu 0xfffe
	s_cbranch_vccnz .LBB0_9
; %bb.7:                                ;   in Loop: Header=BB0_2 Depth=1
	v_dual_mov_b32 v5, v42 :: v_dual_mov_b32 v6, v43
	s_branch .LBB0_2
.LBB0_8:
	v_dual_mov_b32 v41, v2 :: v_dual_mov_b32 v40, v1
	v_dual_mov_b32 v43, v6 :: v_dual_mov_b32 v42, v5
.LBB0_9:
	s_load_b64 s[0:1], s[0:1], 0x28
	v_mul_hi_u32 v3, 0x4444445, v0
	v_and_b32_e32 v4, 3, v7
                                        ; implicit-def: $vgpr44
	s_wait_kmcnt 0x0
	v_cmp_gt_u64_e32 vcc_lo, s[0:1], v[42:43]
	v_cmp_le_u64_e64 s0, s[0:1], v[42:43]
	s_delay_alu instid0(VALU_DEP_1)
	s_and_saveexec_b32 s1, s0
	s_wait_alu 0xfffe
	s_xor_b32 s0, exec_lo, s1
; %bb.10:
	v_mul_u32_u24_e32 v1, 60, v3
                                        ; implicit-def: $vgpr3
	s_delay_alu instid0(VALU_DEP_1)
	v_sub_nc_u32_e32 v44, v0, v1
                                        ; implicit-def: $vgpr0
                                        ; implicit-def: $vgpr1_vgpr2
; %bb.11:
	s_wait_alu 0xfffe
	s_or_saveexec_b32 s1, s0
	v_mul_u32_u24_e32 v4, 0x169, v4
	s_lshl_b64 s[2:3], s[10:11], 3
	s_delay_alu instid0(VALU_DEP_1)
	v_lshlrev_b32_e32 v49, 4, v4
	s_wait_alu 0xfffe
	s_xor_b32 exec_lo, exec_lo, s1
	s_cbranch_execz .LBB0_13
; %bb.12:
	s_add_nc_u64 s[10:11], s[12:13], s[2:3]
	v_lshlrev_b64_e32 v[1:2], 4, v[1:2]
	s_load_b64 s[10:11], s[10:11], 0x0
	s_wait_kmcnt 0x0
	v_mul_lo_u32 v6, s11, v42
	v_mul_lo_u32 v7, s10, v43
	v_mad_co_u64_u32 v[4:5], null, s10, v42, 0
	s_delay_alu instid0(VALU_DEP_1) | instskip(SKIP_1) | instid1(VALU_DEP_2)
	v_add3_u32 v5, v5, v7, v6
	v_mul_u32_u24_e32 v6, 60, v3
	v_lshlrev_b64_e32 v[3:4], 4, v[4:5]
	s_delay_alu instid0(VALU_DEP_2) | instskip(NEXT) | instid1(VALU_DEP_1)
	v_sub_nc_u32_e32 v44, v0, v6
	v_lshlrev_b32_e32 v24, 4, v44
	s_delay_alu instid0(VALU_DEP_3) | instskip(SKIP_1) | instid1(VALU_DEP_4)
	v_add_co_u32 v0, s0, s4, v3
	s_wait_alu 0xf1ff
	v_add_co_ci_u32_e64 v3, s0, s5, v4, s0
	s_delay_alu instid0(VALU_DEP_2) | instskip(SKIP_1) | instid1(VALU_DEP_2)
	v_add_co_u32 v0, s0, v0, v1
	s_wait_alu 0xf1ff
	v_add_co_ci_u32_e64 v1, s0, v3, v2, s0
	s_delay_alu instid0(VALU_DEP_2) | instskip(SKIP_1) | instid1(VALU_DEP_2)
	v_add_co_u32 v20, s0, v0, v24
	s_wait_alu 0xf1ff
	v_add_co_ci_u32_e64 v21, s0, 0, v1, s0
	s_clause 0x5
	global_load_b128 v[0:3], v[20:21], off
	global_load_b128 v[4:7], v[20:21], off offset:960
	global_load_b128 v[8:11], v[20:21], off offset:1920
	;; [unrolled: 1-line block ×5, first 2 shown]
	v_add3_u32 v24, 0, v49, v24
	s_wait_loadcnt 0x5
	ds_store_b128 v24, v[0:3]
	s_wait_loadcnt 0x4
	ds_store_b128 v24, v[4:7] offset:960
	s_wait_loadcnt 0x3
	ds_store_b128 v24, v[8:11] offset:1920
	;; [unrolled: 2-line block ×5, first 2 shown]
.LBB0_13:
	s_or_b32 exec_lo, exec_lo, s1
	v_lshlrev_b32_e32 v45, 4, v44
	v_add_nc_u32_e32 v46, 0, v49
	global_wb scope:SCOPE_SE
	s_wait_dscnt 0x0
	s_barrier_signal -1
	s_barrier_wait -1
	v_add_nc_u32_e32 v50, 0, v45
	v_add_nc_u32_e32 v47, v46, v45
	global_inv scope:SCOPE_SE
	s_add_nc_u64 s[2:3], s[14:15], s[2:3]
	s_mov_b32 s12, exec_lo
	v_add_nc_u32_e32 v48, v50, v49
	ds_load_b128 v[28:31], v47
	ds_load_b128 v[32:35], v48 offset:576
	ds_load_b128 v[24:27], v48 offset:1152
	;; [unrolled: 1-line block ×9, first 2 shown]
	global_wb scope:SCOPE_SE
	s_wait_dscnt 0x0
	s_barrier_signal -1
	s_barrier_wait -1
	global_inv scope:SCOPE_SE
	v_cmpx_gt_u32_e32 36, v44
	s_cbranch_execz .LBB0_15
; %bb.14:
	v_add_f64_e32 v[51:52], v[18:19], v[14:15]
	v_add_f64_e32 v[57:58], v[16:17], v[12:13]
	;; [unrolled: 1-line block ×4, first 2 shown]
	v_add_f64_e64 v[59:60], v[36:37], -v[4:5]
	v_add_f64_e64 v[65:66], v[38:39], -v[6:7]
	;; [unrolled: 1-line block ×4, first 2 shown]
	s_mov_b32 s0, 0x134454ff
	s_mov_b32 s1, 0x3fee6f0e
	;; [unrolled: 1-line block ×3, first 2 shown]
	s_wait_alu 0xfffe
	s_mov_b32 s4, s0
	v_add_f64_e32 v[67:68], v[22:23], v[10:11]
	v_add_f64_e32 v[69:70], v[26:27], v[2:3]
	;; [unrolled: 1-line block ×4, first 2 shown]
	v_add_f64_e64 v[75:76], v[36:37], -v[16:17]
	v_add_f64_e64 v[77:78], v[38:39], -v[18:19]
	;; [unrolled: 1-line block ×7, first 2 shown]
	s_mov_b32 s10, 0x4755a5e
	s_mov_b32 s11, 0x3fe2cf23
	v_add_f64_e32 v[95:96], v[30:31], v[26:27]
	v_add_f64_e32 v[97:98], v[28:29], v[24:25]
	s_mov_b32 s15, 0xbfe2cf23
	s_wait_alu 0xfffe
	s_mov_b32 s14, s10
	s_mov_b32 s16, 0x372fe950
	;; [unrolled: 1-line block ×5, first 2 shown]
	v_fma_f64 v[51:52], v[51:52], -0.5, v[34:35]
	v_fma_f64 v[57:58], v[57:58], -0.5, v[32:33]
	;; [unrolled: 1-line block ×4, first 2 shown]
	v_add_f64_e32 v[34:35], v[34:35], v[38:39]
	v_add_f64_e32 v[32:33], v[32:33], v[36:37]
	v_add_f64_e64 v[36:37], v[4:5], -v[12:13]
	v_fma_f64 v[67:68], v[67:68], -0.5, v[30:31]
	v_fma_f64 v[30:31], v[69:70], -0.5, v[30:31]
	;; [unrolled: 1-line block ×4, first 2 shown]
	v_add_f64_e64 v[71:72], v[24:25], -v[0:1]
	v_add_f64_e64 v[73:74], v[26:27], -v[2:3]
	v_add_f64_e32 v[77:78], v[77:78], v[79:80]
	v_add_f64_e64 v[79:80], v[20:21], -v[8:9]
	v_add_f64_e32 v[85:86], v[85:86], v[87:88]
	v_add_f64_e32 v[81:82], v[81:82], v[83:84]
	v_add_f64_e64 v[83:84], v[22:23], -v[10:11]
	v_fma_f64 v[89:90], v[59:60], s[0:1], v[51:52]
	v_fma_f64 v[38:39], v[65:66], s[0:1], v[57:58]
	;; [unrolled: 1-line block ×8, first 2 shown]
	v_add_f64_e32 v[36:37], v[75:76], v[36:37]
	v_add_f64_e32 v[18:19], v[34:35], v[18:19]
	;; [unrolled: 1-line block ×3, first 2 shown]
	v_add_f64_e64 v[75:76], v[10:11], -v[2:3]
	v_fma_f64 v[32:33], v[71:72], s[0:1], v[67:68]
	v_fma_f64 v[67:68], v[71:72], s[4:5], v[67:68]
	;; [unrolled: 1-line block ×11, first 2 shown]
	v_add_f64_e64 v[59:60], v[26:27], -v[22:23]
	v_add_f64_e64 v[26:27], v[22:23], -v[26:27]
	;; [unrolled: 1-line block ×4, first 2 shown]
	v_add_f64_e32 v[22:23], v[95:96], v[22:23]
	v_add_f64_e32 v[20:21], v[97:98], v[20:21]
	v_add_f64_e64 v[65:66], v[2:3], -v[10:11]
	v_add_f64_e64 v[93:94], v[0:1], -v[8:9]
	v_fma_f64 v[97:98], v[73:74], s[4:5], v[69:70]
	v_fma_f64 v[51:52], v[61:62], s[14:15], v[51:52]
	;; [unrolled: 1-line block ×3, first 2 shown]
	v_add_f64_e64 v[95:96], v[8:9], -v[0:1]
	v_fma_f64 v[61:62], v[83:84], s[0:1], v[28:29]
	v_fma_f64 v[28:29], v[83:84], s[4:5], v[28:29]
	v_add_f64_e32 v[14:15], v[18:19], v[14:15]
	v_add_f64_e32 v[12:13], v[16:17], v[12:13]
	v_fma_f64 v[16:17], v[79:80], s[10:11], v[32:33]
	v_fma_f64 v[18:19], v[71:72], s[10:11], v[34:35]
	;; [unrolled: 1-line block ×9, first 2 shown]
	v_add_f64_e32 v[26:27], v[26:27], v[75:76]
	v_add_f64_e32 v[10:11], v[22:23], v[10:11]
	;; [unrolled: 1-line block ×5, first 2 shown]
	v_fma_f64 v[20:21], v[71:72], s[14:15], v[30:31]
	v_fma_f64 v[22:23], v[79:80], s[14:15], v[67:68]
	;; [unrolled: 1-line block ×5, first 2 shown]
	v_add_f64_e32 v[24:25], v[24:25], v[95:96]
	v_fma_f64 v[32:33], v[73:74], s[14:15], v[61:62]
	v_fma_f64 v[28:29], v[73:74], s[10:11], v[28:29]
	v_add_f64_e32 v[6:7], v[14:15], v[6:7]
	v_add_f64_e32 v[4:5], v[12:13], v[4:5]
	v_mul_f64_e32 v[34:35], s[18:19], v[87:88]
	v_mul_f64_e32 v[67:68], s[14:15], v[38:39]
	;; [unrolled: 1-line block ×8, first 2 shown]
	v_add_f64_e32 v[10:11], v[10:11], v[2:3]
	v_add_f64_e32 v[8:9], v[8:9], v[0:1]
	v_fma_f64 v[12:13], v[57:58], s[16:17], v[16:17]
	v_fma_f64 v[16:17], v[26:27], s[16:17], v[18:19]
	;; [unrolled: 1-line block ×5, first 2 shown]
	v_fma_f64 v[22:23], v[36:37], s[14:15], -v[34:35]
	v_fma_f64 v[36:37], v[59:60], s[16:17], v[65:66]
	v_fma_f64 v[59:60], v[51:52], s[18:19], v[67:68]
	;; [unrolled: 1-line block ×3, first 2 shown]
	v_fma_f64 v[26:27], v[55:56], s[4:5], -v[61:62]
	v_fma_f64 v[30:31], v[53:54], s[16:17], v[63:64]
	v_fma_f64 v[55:56], v[24:25], s[16:17], v[28:29]
	;; [unrolled: 1-line block ×4, first 2 shown]
	v_fma_f64 v[63:64], v[89:90], s[0:1], -v[71:72]
	v_fma_f64 v[65:66], v[87:88], s[10:11], -v[73:74]
	v_add_f64_e64 v[2:3], v[10:11], -v[6:7]
	v_add_f64_e64 v[0:1], v[8:9], -v[4:5]
	v_add_f64_e32 v[6:7], v[10:11], v[6:7]
	v_add_f64_e32 v[4:5], v[8:9], v[4:5]
	v_add_f64_e64 v[10:11], v[12:13], -v[22:23]
	v_add_f64_e32 v[22:23], v[12:13], v[22:23]
	v_add_f64_e32 v[34:35], v[57:58], v[59:60]
	v_add_f64_e32 v[32:33], v[36:37], v[51:52]
	v_add_f64_e64 v[14:15], v[16:17], -v[26:27]
	v_add_f64_e64 v[18:19], v[20:21], -v[30:31]
	v_add_f64_e32 v[30:31], v[20:21], v[30:31]
	v_add_f64_e32 v[28:29], v[55:56], v[61:62]
	;; [unrolled: 1-line block ×5, first 2 shown]
	v_add_f64_e64 v[38:39], v[57:58], -v[59:60]
	v_add_f64_e64 v[36:37], v[36:37], -v[51:52]
	;; [unrolled: 1-line block ×5, first 2 shown]
	v_mul_u32_u24_e32 v51, 0x90, v44
	s_delay_alu instid0(VALU_DEP_1)
	v_add3_u32 v50, v50, v51, v49
	ds_store_b128 v50, v[4:7]
	ds_store_b128 v50, v[32:35] offset:16
	ds_store_b128 v50, v[28:31] offset:32
	;; [unrolled: 1-line block ×9, first 2 shown]
.LBB0_15:
	s_or_b32 exec_lo, exec_lo, s12
	v_and_b32_e32 v0, 0xff, v44
	s_load_b64 s[2:3], s[2:3], 0x0
	global_wb scope:SCOPE_SE
	s_wait_dscnt 0x0
	s_wait_kmcnt 0x0
	s_barrier_signal -1
	s_barrier_wait -1
	v_mul_lo_u16 v0, 0xcd, v0
	global_inv scope:SCOPE_SE
	s_mov_b32 s4, 0xe8584caa
	s_mov_b32 s5, 0x3febb67a
	;; [unrolled: 1-line block ×3, first 2 shown]
	v_lshrrev_b16 v50, 11, v0
	s_wait_alu 0xfffe
	s_mov_b32 s0, s4
	s_delay_alu instid0(VALU_DEP_1) | instskip(NEXT) | instid1(VALU_DEP_1)
	v_mul_lo_u16 v0, v50, 10
	v_sub_nc_u16 v0, v44, v0
	s_delay_alu instid0(VALU_DEP_1) | instskip(NEXT) | instid1(VALU_DEP_1)
	v_and_b32_e32 v51, 0xff, v0
	v_mul_u32_u24_e32 v0, 5, v51
	s_delay_alu instid0(VALU_DEP_1)
	v_lshlrev_b32_e32 v16, 4, v0
	s_clause 0x4
	global_load_b128 v[0:3], v16, s[8:9] offset:32
	global_load_b128 v[4:7], v16, s[8:9] offset:64
	global_load_b128 v[8:11], v16, s[8:9]
	global_load_b128 v[12:15], v16, s[8:9] offset:16
	global_load_b128 v[16:19], v16, s[8:9] offset:48
	ds_load_b128 v[20:23], v48 offset:2880
	ds_load_b128 v[24:27], v48 offset:4800
	;; [unrolled: 1-line block ×3, first 2 shown]
	s_wait_loadcnt_dscnt 0x402
	v_mul_f64_e32 v[32:33], v[22:23], v[2:3]
	v_mul_f64_e32 v[2:3], v[20:21], v[2:3]
	s_wait_loadcnt_dscnt 0x301
	v_mul_f64_e32 v[34:35], v[24:25], v[6:7]
	v_mul_f64_e32 v[6:7], v[26:27], v[6:7]
	s_wait_loadcnt_dscnt 0x200
	v_mul_f64_e32 v[36:37], v[30:31], v[10:11]
	v_mul_f64_e32 v[10:11], v[28:29], v[10:11]
	v_fma_f64 v[20:21], v[20:21], v[0:1], -v[32:33]
	v_fma_f64 v[22:23], v[22:23], v[0:1], v[2:3]
	v_fma_f64 v[26:27], v[26:27], v[4:5], v[34:35]
	v_fma_f64 v[24:25], v[24:25], v[4:5], -v[6:7]
	ds_load_b128 v[0:3], v48 offset:1920
	ds_load_b128 v[4:7], v48 offset:3840
	v_fma_f64 v[28:29], v[28:29], v[8:9], -v[36:37]
	v_fma_f64 v[8:9], v[30:31], v[8:9], v[10:11]
	s_wait_loadcnt_dscnt 0x101
	v_mul_f64_e32 v[32:33], v[2:3], v[14:15]
	v_mul_f64_e32 v[14:15], v[0:1], v[14:15]
	s_wait_loadcnt_dscnt 0x0
	v_mul_f64_e32 v[34:35], v[6:7], v[18:19]
	v_mul_f64_e32 v[18:19], v[4:5], v[18:19]
	v_add_f64_e32 v[10:11], v[22:23], v[26:27]
	v_add_f64_e32 v[30:31], v[20:21], v[24:25]
	v_fma_f64 v[32:33], v[0:1], v[12:13], -v[32:33]
	v_fma_f64 v[12:13], v[2:3], v[12:13], v[14:15]
	v_fma_f64 v[4:5], v[4:5], v[16:17], -v[34:35]
	v_fma_f64 v[6:7], v[6:7], v[16:17], v[18:19]
	v_add_f64_e64 v[0:1], v[22:23], -v[26:27]
	v_add_f64_e64 v[2:3], v[20:21], -v[24:25]
	v_add_f64_e32 v[20:21], v[28:29], v[20:21]
	v_fma_f64 v[10:11], v[10:11], -0.5, v[8:9]
	v_fma_f64 v[14:15], v[30:31], -0.5, v[28:29]
	v_add_f64_e32 v[8:9], v[8:9], v[22:23]
	v_add_f64_e32 v[16:17], v[32:33], v[4:5]
	;; [unrolled: 1-line block ×3, first 2 shown]
	v_add_f64_e64 v[38:39], v[12:13], -v[6:7]
	s_wait_alu 0xfffe
	v_fma_f64 v[30:31], v[2:3], s[0:1], v[10:11]
	v_fma_f64 v[34:35], v[0:1], s[0:1], v[14:15]
	;; [unrolled: 1-line block ×4, first 2 shown]
	ds_load_b128 v[0:3], v47
	v_add_f64_e32 v[8:9], v[8:9], v[26:27]
	global_wb scope:SCOPE_SE
	s_wait_dscnt 0x0
	s_barrier_signal -1
	s_barrier_wait -1
	global_inv scope:SCOPE_SE
	v_add_f64_e32 v[36:37], v[0:1], v[32:33]
	v_add_f64_e32 v[12:13], v[2:3], v[12:13]
	v_fma_f64 v[0:1], v[16:17], -0.5, v[0:1]
	v_add_f64_e64 v[16:17], v[32:33], -v[4:5]
	v_fma_f64 v[2:3], v[18:19], -0.5, v[2:3]
	v_mul_f64_e32 v[18:19], s[4:5], v[30:31]
	v_mul_f64_e32 v[22:23], -0.5, v[34:35]
	v_mul_f64_e32 v[28:29], s[0:1], v[14:15]
	v_mul_f64_e32 v[32:33], -0.5, v[10:11]
	v_add_f64_e32 v[4:5], v[36:37], v[4:5]
	v_add_f64_e32 v[6:7], v[12:13], v[6:7]
	;; [unrolled: 1-line block ×3, first 2 shown]
	v_fma_f64 v[20:21], v[38:39], s[4:5], v[0:1]
	v_fma_f64 v[26:27], v[16:17], s[0:1], v[2:3]
	;; [unrolled: 1-line block ×4, first 2 shown]
	v_fma_f64 v[16:17], v[14:15], 0.5, v[18:19]
	v_fma_f64 v[18:19], v[10:11], s[4:5], v[22:23]
	v_fma_f64 v[22:23], v[30:31], 0.5, v[28:29]
	v_fma_f64 v[28:29], v[34:35], s[0:1], v[32:33]
	v_add_f64_e32 v[2:3], v[6:7], v[8:9]
	v_add_f64_e32 v[0:1], v[4:5], v[12:13]
	v_add_f64_e64 v[6:7], v[6:7], -v[8:9]
	v_add_f64_e64 v[4:5], v[4:5], -v[12:13]
	v_add_f64_e32 v[8:9], v[20:21], v[16:17]
	v_add_f64_e32 v[12:13], v[24:25], v[18:19]
	v_add_f64_e32 v[10:11], v[26:27], v[22:23]
	v_add_f64_e32 v[14:15], v[36:37], v[28:29]
	v_add_f64_e64 v[16:17], v[20:21], -v[16:17]
	v_add_f64_e64 v[20:21], v[24:25], -v[18:19]
	;; [unrolled: 1-line block ×4, first 2 shown]
	v_and_b32_e32 v24, 0xffff, v50
	v_mul_u32_u24_e32 v25, 5, v44
	v_lshlrev_b32_e32 v26, 4, v51
	s_delay_alu instid0(VALU_DEP_3) | instskip(NEXT) | instid1(VALU_DEP_3)
	v_mad_u32_u24 v24, 0x3c0, v24, 0
	v_lshlrev_b32_e32 v25, 4, v25
	s_delay_alu instid0(VALU_DEP_2)
	v_add3_u32 v24, v24, v26, v49
	ds_store_b128 v24, v[0:3]
	ds_store_b128 v24, v[8:11] offset:160
	ds_store_b128 v24, v[12:15] offset:320
	;; [unrolled: 1-line block ×5, first 2 shown]
	global_wb scope:SCOPE_SE
	s_wait_dscnt 0x0
	s_barrier_signal -1
	s_barrier_wait -1
	global_inv scope:SCOPE_SE
	s_clause 0x4
	global_load_b128 v[0:3], v25, s[8:9] offset:832
	global_load_b128 v[4:7], v25, s[8:9] offset:864
	global_load_b128 v[8:11], v25, s[8:9] offset:800
	global_load_b128 v[12:15], v25, s[8:9] offset:816
	global_load_b128 v[16:19], v25, s[8:9] offset:848
	ds_load_b128 v[20:23], v48 offset:2880
	ds_load_b128 v[24:27], v48 offset:4800
	;; [unrolled: 1-line block ×3, first 2 shown]
	s_wait_loadcnt_dscnt 0x402
	v_mul_f64_e32 v[32:33], v[22:23], v[2:3]
	v_mul_f64_e32 v[2:3], v[20:21], v[2:3]
	s_wait_loadcnt_dscnt 0x301
	v_mul_f64_e32 v[34:35], v[24:25], v[6:7]
	v_mul_f64_e32 v[6:7], v[26:27], v[6:7]
	;; [unrolled: 3-line block ×3, first 2 shown]
	v_fma_f64 v[20:21], v[20:21], v[0:1], -v[32:33]
	v_fma_f64 v[22:23], v[22:23], v[0:1], v[2:3]
	v_fma_f64 v[26:27], v[26:27], v[4:5], v[34:35]
	v_fma_f64 v[24:25], v[24:25], v[4:5], -v[6:7]
	ds_load_b128 v[0:3], v48 offset:1920
	ds_load_b128 v[4:7], v48 offset:3840
	v_fma_f64 v[28:29], v[28:29], v[8:9], -v[36:37]
	v_fma_f64 v[8:9], v[30:31], v[8:9], v[10:11]
	s_wait_loadcnt_dscnt 0x101
	v_mul_f64_e32 v[32:33], v[2:3], v[14:15]
	v_mul_f64_e32 v[14:15], v[0:1], v[14:15]
	s_wait_loadcnt_dscnt 0x0
	v_mul_f64_e32 v[34:35], v[6:7], v[18:19]
	v_mul_f64_e32 v[18:19], v[4:5], v[18:19]
	v_add_f64_e32 v[10:11], v[22:23], v[26:27]
	v_add_f64_e32 v[30:31], v[20:21], v[24:25]
	v_fma_f64 v[32:33], v[0:1], v[12:13], -v[32:33]
	v_fma_f64 v[12:13], v[2:3], v[12:13], v[14:15]
	v_fma_f64 v[4:5], v[4:5], v[16:17], -v[34:35]
	v_fma_f64 v[6:7], v[6:7], v[16:17], v[18:19]
	v_add_f64_e64 v[0:1], v[22:23], -v[26:27]
	v_add_f64_e64 v[2:3], v[20:21], -v[24:25]
	v_add_f64_e32 v[20:21], v[28:29], v[20:21]
	v_fma_f64 v[10:11], v[10:11], -0.5, v[8:9]
	v_fma_f64 v[14:15], v[30:31], -0.5, v[28:29]
	v_add_f64_e32 v[8:9], v[8:9], v[22:23]
	v_add_f64_e32 v[16:17], v[32:33], v[4:5]
	;; [unrolled: 1-line block ×3, first 2 shown]
	v_add_f64_e64 v[38:39], v[12:13], -v[6:7]
	v_fma_f64 v[30:31], v[2:3], s[0:1], v[10:11]
	v_fma_f64 v[34:35], v[0:1], s[0:1], v[14:15]
	;; [unrolled: 1-line block ×4, first 2 shown]
	ds_load_b128 v[0:3], v47
	v_add_f64_e32 v[8:9], v[8:9], v[26:27]
	global_wb scope:SCOPE_SE
	s_wait_dscnt 0x0
	s_barrier_signal -1
	s_barrier_wait -1
	global_inv scope:SCOPE_SE
	v_add_f64_e32 v[36:37], v[0:1], v[32:33]
	v_add_f64_e32 v[12:13], v[2:3], v[12:13]
	v_fma_f64 v[0:1], v[16:17], -0.5, v[0:1]
	v_add_f64_e64 v[16:17], v[32:33], -v[4:5]
	v_fma_f64 v[2:3], v[18:19], -0.5, v[2:3]
	v_mul_f64_e32 v[18:19], s[4:5], v[30:31]
	v_mul_f64_e32 v[22:23], -0.5, v[34:35]
	v_mul_f64_e32 v[28:29], s[0:1], v[14:15]
	v_mul_f64_e32 v[32:33], -0.5, v[10:11]
	v_add_f64_e32 v[4:5], v[36:37], v[4:5]
	v_add_f64_e32 v[6:7], v[12:13], v[6:7]
	;; [unrolled: 1-line block ×3, first 2 shown]
	v_fma_f64 v[20:21], v[38:39], s[4:5], v[0:1]
	v_fma_f64 v[26:27], v[16:17], s[0:1], v[2:3]
	;; [unrolled: 1-line block ×4, first 2 shown]
	v_fma_f64 v[16:17], v[14:15], 0.5, v[18:19]
	v_fma_f64 v[18:19], v[10:11], s[4:5], v[22:23]
	v_fma_f64 v[22:23], v[30:31], 0.5, v[28:29]
	v_fma_f64 v[28:29], v[34:35], s[0:1], v[32:33]
	s_mov_b32 s1, exec_lo
	v_add_f64_e32 v[2:3], v[6:7], v[8:9]
	v_add_f64_e32 v[0:1], v[4:5], v[12:13]
	v_add_f64_e64 v[6:7], v[6:7], -v[8:9]
	v_add_f64_e64 v[4:5], v[4:5], -v[12:13]
	v_add_f64_e32 v[8:9], v[20:21], v[16:17]
	v_add_f64_e32 v[12:13], v[24:25], v[18:19]
	;; [unrolled: 1-line block ×4, first 2 shown]
	v_add_f64_e64 v[16:17], v[20:21], -v[16:17]
	v_add_f64_e64 v[20:21], v[24:25], -v[18:19]
	;; [unrolled: 1-line block ×4, first 2 shown]
	ds_store_b128 v48, v[0:3]
	ds_store_b128 v48, v[8:11] offset:960
	ds_store_b128 v48, v[12:15] offset:1920
	;; [unrolled: 1-line block ×5, first 2 shown]
	global_wb scope:SCOPE_SE
	s_wait_dscnt 0x0
	s_barrier_signal -1
	s_barrier_wait -1
	global_inv scope:SCOPE_SE
	ds_load_b128 v[4:7], v47
	v_sub_nc_u32_e32 v14, v46, v45
                                        ; implicit-def: $vgpr0_vgpr1
                                        ; implicit-def: $vgpr8_vgpr9
                                        ; implicit-def: $vgpr10_vgpr11
                                        ; implicit-def: $vgpr12_vgpr13
	v_cmpx_ne_u32_e32 0, v44
	s_wait_alu 0xfffe
	s_xor_b32 s1, exec_lo, s1
	s_cbranch_execz .LBB0_17
; %bb.16:
	v_mov_b32_e32 v45, 0
	s_delay_alu instid0(VALU_DEP_1) | instskip(NEXT) | instid1(VALU_DEP_1)
	v_lshlrev_b64_e32 v[0:1], 4, v[44:45]
	v_add_co_u32 v0, s0, s8, v0
	s_wait_alu 0xf1ff
	s_delay_alu instid0(VALU_DEP_2)
	v_add_co_ci_u32_e64 v1, s0, s9, v1, s0
	global_load_b128 v[15:18], v[0:1], off offset:5600
	ds_load_b128 v[0:3], v14 offset:5760
	s_wait_dscnt 0x0
	v_add_f64_e64 v[8:9], v[4:5], -v[0:1]
	v_add_f64_e32 v[10:11], v[6:7], v[2:3]
	v_add_f64_e64 v[2:3], v[6:7], -v[2:3]
	v_add_f64_e32 v[0:1], v[4:5], v[0:1]
	s_delay_alu instid0(VALU_DEP_4) | instskip(NEXT) | instid1(VALU_DEP_4)
	v_mul_f64_e32 v[6:7], 0.5, v[8:9]
	v_mul_f64_e32 v[4:5], 0.5, v[10:11]
	s_delay_alu instid0(VALU_DEP_4) | instskip(SKIP_1) | instid1(VALU_DEP_3)
	v_mul_f64_e32 v[2:3], 0.5, v[2:3]
	s_wait_loadcnt 0x0
	v_mul_f64_e32 v[8:9], v[6:7], v[17:18]
	s_delay_alu instid0(VALU_DEP_2) | instskip(SKIP_1) | instid1(VALU_DEP_3)
	v_fma_f64 v[10:11], v[4:5], v[17:18], v[2:3]
	v_fma_f64 v[2:3], v[4:5], v[17:18], -v[2:3]
	v_fma_f64 v[12:13], v[0:1], 0.5, v[8:9]
	v_fma_f64 v[0:1], v[0:1], 0.5, -v[8:9]
	s_delay_alu instid0(VALU_DEP_4) | instskip(NEXT) | instid1(VALU_DEP_4)
	v_fma_f64 v[10:11], -v[15:16], v[6:7], v[10:11]
	v_fma_f64 v[2:3], -v[15:16], v[6:7], v[2:3]
	s_delay_alu instid0(VALU_DEP_4) | instskip(NEXT) | instid1(VALU_DEP_4)
	v_fma_f64 v[8:9], v[4:5], v[15:16], v[12:13]
	v_fma_f64 v[0:1], -v[4:5], v[15:16], v[0:1]
	v_dual_mov_b32 v12, v44 :: v_dual_mov_b32 v13, v45
                                        ; implicit-def: $vgpr4_vgpr5
.LBB0_17:
	s_wait_alu 0xfffe
	s_and_not1_saveexec_b32 s0, s1
	s_cbranch_execz .LBB0_19
; %bb.18:
	s_wait_dscnt 0x0
	v_add_f64_e32 v[8:9], v[4:5], v[6:7]
	v_add_f64_e64 v[0:1], v[4:5], -v[6:7]
	ds_load_b64 v[4:5], v46 offset:2888
	v_mov_b32_e32 v10, 0
	v_dual_mov_b32 v11, 0 :: v_dual_mov_b32 v12, 0
	s_delay_alu instid0(VALU_DEP_2) | instskip(NEXT) | instid1(VALU_DEP_2)
	v_dual_mov_b32 v13, 0 :: v_dual_mov_b32 v2, v10
	v_mov_b32_e32 v3, v11
	s_wait_dscnt 0x0
	v_xor_b32_e32 v5, 0x80000000, v5
	ds_store_b64 v46, v[4:5] offset:2888
.LBB0_19:
	s_wait_alu 0xfffe
	s_or_b32 exec_lo, exec_lo, s0
	s_wait_dscnt 0x0
	v_lshlrev_b64_e32 v[4:5], 4, v[12:13]
	s_add_nc_u64 s[0:1], s[8:9], 0x15e0
	s_wait_alu 0xfffe
	s_delay_alu instid0(VALU_DEP_1) | instskip(SKIP_1) | instid1(VALU_DEP_2)
	v_add_co_u32 v12, s0, s0, v4
	s_wait_alu 0xf1ff
	v_add_co_ci_u32_e64 v13, s0, s1, v5, s0
	s_clause 0x1
	global_load_b128 v[4:7], v[12:13], off offset:960
	global_load_b128 v[15:18], v[12:13], off offset:1920
	ds_store_2addr_b64 v47, v[8:9], v[10:11] offset1:1
	ds_store_b128 v14, v[0:3] offset:5760
	ds_load_b128 v[0:3], v47 offset:960
	ds_load_b128 v[8:11], v14 offset:4800
	s_wait_dscnt 0x0
	v_add_f64_e64 v[12:13], v[0:1], -v[8:9]
	v_add_f64_e32 v[19:20], v[2:3], v[10:11]
	v_add_f64_e64 v[2:3], v[2:3], -v[10:11]
	v_add_f64_e32 v[0:1], v[0:1], v[8:9]
	s_delay_alu instid0(VALU_DEP_4) | instskip(NEXT) | instid1(VALU_DEP_4)
	v_mul_f64_e32 v[10:11], 0.5, v[12:13]
	v_mul_f64_e32 v[12:13], 0.5, v[19:20]
	s_delay_alu instid0(VALU_DEP_4) | instskip(SKIP_1) | instid1(VALU_DEP_3)
	v_mul_f64_e32 v[2:3], 0.5, v[2:3]
	s_wait_loadcnt 0x1
	v_mul_f64_e32 v[8:9], v[10:11], v[6:7]
	s_delay_alu instid0(VALU_DEP_2) | instskip(SKIP_1) | instid1(VALU_DEP_3)
	v_fma_f64 v[19:20], v[12:13], v[6:7], v[2:3]
	v_fma_f64 v[2:3], v[12:13], v[6:7], -v[2:3]
	v_fma_f64 v[6:7], v[0:1], 0.5, v[8:9]
	v_fma_f64 v[0:1], v[0:1], 0.5, -v[8:9]
	s_delay_alu instid0(VALU_DEP_4) | instskip(NEXT) | instid1(VALU_DEP_4)
	v_fma_f64 v[8:9], -v[4:5], v[10:11], v[19:20]
	v_fma_f64 v[2:3], -v[4:5], v[10:11], v[2:3]
	s_delay_alu instid0(VALU_DEP_4) | instskip(NEXT) | instid1(VALU_DEP_4)
	v_fma_f64 v[6:7], v[12:13], v[4:5], v[6:7]
	v_fma_f64 v[0:1], -v[12:13], v[4:5], v[0:1]
	ds_store_2addr_b64 v47, v[6:7], v[8:9] offset0:120 offset1:121
	ds_store_b128 v14, v[0:3] offset:4800
	ds_load_b128 v[0:3], v47 offset:1920
	ds_load_b128 v[4:7], v14 offset:3840
	s_wait_dscnt 0x0
	v_add_f64_e64 v[8:9], v[0:1], -v[4:5]
	v_add_f64_e32 v[10:11], v[2:3], v[6:7]
	v_add_f64_e64 v[2:3], v[2:3], -v[6:7]
	v_add_f64_e32 v[0:1], v[0:1], v[4:5]
	s_delay_alu instid0(VALU_DEP_4) | instskip(NEXT) | instid1(VALU_DEP_4)
	v_mul_f64_e32 v[6:7], 0.5, v[8:9]
	v_mul_f64_e32 v[8:9], 0.5, v[10:11]
	s_delay_alu instid0(VALU_DEP_4) | instskip(SKIP_1) | instid1(VALU_DEP_3)
	v_mul_f64_e32 v[2:3], 0.5, v[2:3]
	s_wait_loadcnt 0x0
	v_mul_f64_e32 v[4:5], v[6:7], v[17:18]
	s_delay_alu instid0(VALU_DEP_2) | instskip(SKIP_1) | instid1(VALU_DEP_3)
	v_fma_f64 v[10:11], v[8:9], v[17:18], v[2:3]
	v_fma_f64 v[2:3], v[8:9], v[17:18], -v[2:3]
	v_fma_f64 v[12:13], v[0:1], 0.5, v[4:5]
	v_fma_f64 v[0:1], v[0:1], 0.5, -v[4:5]
	s_delay_alu instid0(VALU_DEP_4) | instskip(NEXT) | instid1(VALU_DEP_4)
	v_fma_f64 v[4:5], -v[15:16], v[6:7], v[10:11]
	v_fma_f64 v[2:3], -v[15:16], v[6:7], v[2:3]
	s_delay_alu instid0(VALU_DEP_4) | instskip(NEXT) | instid1(VALU_DEP_4)
	v_fma_f64 v[6:7], v[8:9], v[15:16], v[12:13]
	v_fma_f64 v[0:1], -v[8:9], v[15:16], v[0:1]
	ds_store_2addr_b64 v47, v[6:7], v[4:5] offset0:240 offset1:241
	ds_store_b128 v14, v[0:3] offset:3840
	global_wb scope:SCOPE_SE
	s_wait_dscnt 0x0
	s_barrier_signal -1
	s_barrier_wait -1
	global_inv scope:SCOPE_SE
	s_and_saveexec_b32 s0, vcc_lo
	s_cbranch_execz .LBB0_22
; %bb.20:
	v_mul_lo_u32 v2, s3, v42
	v_mul_lo_u32 v3, s2, v43
	v_mad_co_u64_u32 v[0:1], null, s2, v42, 0
	v_mov_b32_e32 v45, 0
	v_lshlrev_b64_e32 v[11:12], 4, v[40:41]
	v_add_nc_u32_e32 v13, 60, v44
	s_delay_alu instid0(VALU_DEP_3)
	v_dual_mov_b32 v26, v45 :: v_dual_add_nc_u32 v25, 0x12c, v44
	v_add3_u32 v1, v1, v3, v2
	v_lshl_add_u32 v2, v44, 4, v46
	v_mov_b32_e32 v14, v45
	ds_load_b128 v[3:6], v2
	ds_load_b128 v[7:10], v2 offset:960
	v_lshlrev_b64_e32 v[0:1], 4, v[0:1]
	v_lshlrev_b64_e32 v[15:16], 4, v[44:45]
	;; [unrolled: 1-line block ×3, first 2 shown]
	s_delay_alu instid0(VALU_DEP_3) | instskip(SKIP_1) | instid1(VALU_DEP_4)
	v_add_co_u32 v0, vcc_lo, s6, v0
	s_wait_alu 0xfffd
	v_add_co_ci_u32_e32 v1, vcc_lo, s7, v1, vcc_lo
	s_delay_alu instid0(VALU_DEP_2) | instskip(SKIP_1) | instid1(VALU_DEP_2)
	v_add_co_u32 v0, vcc_lo, v0, v11
	s_wait_alu 0xfffd
	v_add_co_ci_u32_e32 v1, vcc_lo, v1, v12, vcc_lo
	v_lshlrev_b64_e32 v[11:12], 4, v[13:14]
	s_delay_alu instid0(VALU_DEP_3) | instskip(SKIP_1) | instid1(VALU_DEP_3)
	v_add_co_u32 v13, vcc_lo, v0, v15
	s_wait_alu 0xfffd
	v_add_co_ci_u32_e32 v14, vcc_lo, v1, v16, vcc_lo
	v_dual_mov_b32 v16, v45 :: v_dual_add_nc_u32 v15, 0x78, v44
	s_delay_alu instid0(VALU_DEP_4)
	v_add_co_u32 v11, vcc_lo, v0, v11
	s_wait_alu 0xfffd
	v_add_co_ci_u32_e32 v12, vcc_lo, v1, v12, vcc_lo
	s_wait_dscnt 0x1
	global_store_b128 v[13:14], v[3:6], off
	s_wait_dscnt 0x0
	global_store_b128 v[11:12], v[7:10], off
	v_lshlrev_b64_e32 v[3:4], 4, v[15:16]
	v_dual_mov_b32 v12, v45 :: v_dual_add_nc_u32 v11, 0xb4, v44
	v_dual_mov_b32 v14, v45 :: v_dual_add_nc_u32 v13, 0xf0, v44
	s_delay_alu instid0(VALU_DEP_3) | instskip(SKIP_1) | instid1(VALU_DEP_4)
	v_add_co_u32 v19, vcc_lo, v0, v3
	s_wait_alu 0xfffd
	v_add_co_ci_u32_e32 v20, vcc_lo, v1, v4, vcc_lo
	ds_load_b128 v[3:6], v2 offset:1920
	ds_load_b128 v[7:10], v2 offset:2880
	v_lshlrev_b64_e32 v[21:22], 4, v[11:12]
	v_lshlrev_b64_e32 v[23:24], 4, v[13:14]
	ds_load_b128 v[11:14], v2 offset:3840
	ds_load_b128 v[15:18], v2 offset:4800
	v_add_co_u32 v21, vcc_lo, v0, v21
	s_wait_alu 0xfffd
	v_add_co_ci_u32_e32 v22, vcc_lo, v1, v22, vcc_lo
	v_add_co_u32 v23, vcc_lo, v0, v23
	s_wait_alu 0xfffd
	v_add_co_ci_u32_e32 v24, vcc_lo, v1, v24, vcc_lo
	;; [unrolled: 3-line block ×3, first 2 shown]
	v_cmp_eq_u32_e32 vcc_lo, 59, v44
	s_wait_dscnt 0x3
	global_store_b128 v[19:20], v[3:6], off
	s_wait_dscnt 0x2
	global_store_b128 v[21:22], v[7:10], off
	;; [unrolled: 2-line block ×4, first 2 shown]
	s_and_b32 exec_lo, exec_lo, vcc_lo
	s_cbranch_execz .LBB0_22
; %bb.21:
	ds_load_b128 v[2:5], v2 offset:4816
	s_wait_dscnt 0x0
	global_store_b128 v[0:1], v[2:5], off offset:5760
.LBB0_22:
	s_nop 0
	s_sendmsg sendmsg(MSG_DEALLOC_VGPRS)
	s_endpgm
	.section	.rodata,"a",@progbits
	.p2align	6, 0x0
	.amdhsa_kernel fft_rtc_fwd_len360_factors_10_6_6_wgs_240_tpt_60_halfLds_dp_op_CI_CI_unitstride_sbrr_R2C_dirReg
		.amdhsa_group_segment_fixed_size 0
		.amdhsa_private_segment_fixed_size 0
		.amdhsa_kernarg_size 104
		.amdhsa_user_sgpr_count 2
		.amdhsa_user_sgpr_dispatch_ptr 0
		.amdhsa_user_sgpr_queue_ptr 0
		.amdhsa_user_sgpr_kernarg_segment_ptr 1
		.amdhsa_user_sgpr_dispatch_id 0
		.amdhsa_user_sgpr_private_segment_size 0
		.amdhsa_wavefront_size32 1
		.amdhsa_uses_dynamic_stack 0
		.amdhsa_enable_private_segment 0
		.amdhsa_system_sgpr_workgroup_id_x 1
		.amdhsa_system_sgpr_workgroup_id_y 0
		.amdhsa_system_sgpr_workgroup_id_z 0
		.amdhsa_system_sgpr_workgroup_info 0
		.amdhsa_system_vgpr_workitem_id 0
		.amdhsa_next_free_vgpr 99
		.amdhsa_next_free_sgpr 39
		.amdhsa_reserve_vcc 1
		.amdhsa_float_round_mode_32 0
		.amdhsa_float_round_mode_16_64 0
		.amdhsa_float_denorm_mode_32 3
		.amdhsa_float_denorm_mode_16_64 3
		.amdhsa_fp16_overflow 0
		.amdhsa_workgroup_processor_mode 1
		.amdhsa_memory_ordered 1
		.amdhsa_forward_progress 0
		.amdhsa_round_robin_scheduling 0
		.amdhsa_exception_fp_ieee_invalid_op 0
		.amdhsa_exception_fp_denorm_src 0
		.amdhsa_exception_fp_ieee_div_zero 0
		.amdhsa_exception_fp_ieee_overflow 0
		.amdhsa_exception_fp_ieee_underflow 0
		.amdhsa_exception_fp_ieee_inexact 0
		.amdhsa_exception_int_div_zero 0
	.end_amdhsa_kernel
	.text
.Lfunc_end0:
	.size	fft_rtc_fwd_len360_factors_10_6_6_wgs_240_tpt_60_halfLds_dp_op_CI_CI_unitstride_sbrr_R2C_dirReg, .Lfunc_end0-fft_rtc_fwd_len360_factors_10_6_6_wgs_240_tpt_60_halfLds_dp_op_CI_CI_unitstride_sbrr_R2C_dirReg
                                        ; -- End function
	.section	.AMDGPU.csdata,"",@progbits
; Kernel info:
; codeLenInByte = 5824
; NumSgprs: 41
; NumVgprs: 99
; ScratchSize: 0
; MemoryBound: 0
; FloatMode: 240
; IeeeMode: 1
; LDSByteSize: 0 bytes/workgroup (compile time only)
; SGPRBlocks: 5
; VGPRBlocks: 12
; NumSGPRsForWavesPerEU: 41
; NumVGPRsForWavesPerEU: 99
; Occupancy: 12
; WaveLimiterHint : 1
; COMPUTE_PGM_RSRC2:SCRATCH_EN: 0
; COMPUTE_PGM_RSRC2:USER_SGPR: 2
; COMPUTE_PGM_RSRC2:TRAP_HANDLER: 0
; COMPUTE_PGM_RSRC2:TGID_X_EN: 1
; COMPUTE_PGM_RSRC2:TGID_Y_EN: 0
; COMPUTE_PGM_RSRC2:TGID_Z_EN: 0
; COMPUTE_PGM_RSRC2:TIDIG_COMP_CNT: 0
	.text
	.p2alignl 7, 3214868480
	.fill 96, 4, 3214868480
	.type	__hip_cuid_f98fd43908f40dec,@object ; @__hip_cuid_f98fd43908f40dec
	.section	.bss,"aw",@nobits
	.globl	__hip_cuid_f98fd43908f40dec
__hip_cuid_f98fd43908f40dec:
	.byte	0                               ; 0x0
	.size	__hip_cuid_f98fd43908f40dec, 1

	.ident	"AMD clang version 19.0.0git (https://github.com/RadeonOpenCompute/llvm-project roc-6.4.0 25133 c7fe45cf4b819c5991fe208aaa96edf142730f1d)"
	.section	".note.GNU-stack","",@progbits
	.addrsig
	.addrsig_sym __hip_cuid_f98fd43908f40dec
	.amdgpu_metadata
---
amdhsa.kernels:
  - .args:
      - .actual_access:  read_only
        .address_space:  global
        .offset:         0
        .size:           8
        .value_kind:     global_buffer
      - .offset:         8
        .size:           8
        .value_kind:     by_value
      - .actual_access:  read_only
        .address_space:  global
        .offset:         16
        .size:           8
        .value_kind:     global_buffer
      - .actual_access:  read_only
        .address_space:  global
        .offset:         24
        .size:           8
        .value_kind:     global_buffer
      - .actual_access:  read_only
        .address_space:  global
        .offset:         32
        .size:           8
        .value_kind:     global_buffer
      - .offset:         40
        .size:           8
        .value_kind:     by_value
      - .actual_access:  read_only
        .address_space:  global
        .offset:         48
        .size:           8
        .value_kind:     global_buffer
      - .actual_access:  read_only
        .address_space:  global
        .offset:         56
        .size:           8
        .value_kind:     global_buffer
      - .offset:         64
        .size:           4
        .value_kind:     by_value
      - .actual_access:  read_only
        .address_space:  global
        .offset:         72
        .size:           8
        .value_kind:     global_buffer
      - .actual_access:  read_only
        .address_space:  global
        .offset:         80
        .size:           8
        .value_kind:     global_buffer
      - .actual_access:  read_only
        .address_space:  global
        .offset:         88
        .size:           8
        .value_kind:     global_buffer
      - .actual_access:  write_only
        .address_space:  global
        .offset:         96
        .size:           8
        .value_kind:     global_buffer
    .group_segment_fixed_size: 0
    .kernarg_segment_align: 8
    .kernarg_segment_size: 104
    .language:       OpenCL C
    .language_version:
      - 2
      - 0
    .max_flat_workgroup_size: 240
    .name:           fft_rtc_fwd_len360_factors_10_6_6_wgs_240_tpt_60_halfLds_dp_op_CI_CI_unitstride_sbrr_R2C_dirReg
    .private_segment_fixed_size: 0
    .sgpr_count:     41
    .sgpr_spill_count: 0
    .symbol:         fft_rtc_fwd_len360_factors_10_6_6_wgs_240_tpt_60_halfLds_dp_op_CI_CI_unitstride_sbrr_R2C_dirReg.kd
    .uniform_work_group_size: 1
    .uses_dynamic_stack: false
    .vgpr_count:     99
    .vgpr_spill_count: 0
    .wavefront_size: 32
    .workgroup_processor_mode: 1
amdhsa.target:   amdgcn-amd-amdhsa--gfx1201
amdhsa.version:
  - 1
  - 2
...

	.end_amdgpu_metadata
